;; amdgpu-corpus repo=llvm/llvm-project kind=harvested arch=n/a opt=n/a
// NOTE: Assertions have been autogenerated by utils/update_mc_test_checks.py UTC_ARGS: --unique --sort --version 6
// RUN: not llvm-mc -triple=amdgcn -mcpu=gfx900 %s -filetype=null 2>&1 | FileCheck -check-prefixes=GCN,GFX9 --implicit-check-not=error: %s
// RUN: not llvm-mc -triple=amdgcn -mcpu=tonga %s -filetype=null 2>&1 | FileCheck -check-prefixes=GCN,VI --implicit-check-not=error: %s
// RUN: not llvm-mc -triple=amdgcn -mcpu=hawaii %s -filetype=null 2>&1 | FileCheck -check-prefixes=GCN,CI --implicit-check-not=error: %s

v_swap_b32 v1, 1
// CI: :[[@LINE-1]]:1: error: instruction not supported on this GPU
// GFX9: :[[@LINE-2]]:16: error: invalid operand for instruction
// VI: :[[@LINE-3]]:1: error: instruction not supported on this GPU

v_swap_b32 v1, s0
// CI: :[[@LINE-1]]:1: error: instruction not supported on this GPU
// GFX9: :[[@LINE-2]]:16: error: invalid operand for instruction
// VI: :[[@LINE-3]]:1: error: instruction not supported on this GPU

v_swap_b32 v1, v2, v1
// CI: :[[@LINE-1]]:1: error: instruction not supported on this GPU
// GFX9: :[[@LINE-2]]:20: error: invalid operand for instruction
// VI: :[[@LINE-3]]:1: error: instruction not supported on this GPU

v_swap_b32 v1, v2, v2
// CI: :[[@LINE-1]]:1: error: instruction not supported on this GPU
// GFX9: :[[@LINE-2]]:20: error: invalid operand for instruction
// VI: :[[@LINE-3]]:1: error: instruction not supported on this GPU

v_swap_b32 v1, v2, v2, v2
// CI: :[[@LINE-1]]:1: error: instruction not supported on this GPU
// GFX9: :[[@LINE-2]]:20: error: invalid operand for instruction
// VI: :[[@LINE-3]]:1: error: instruction not supported on this GPU

v_swap_b32_e64 v1, v2
// CI: :[[@LINE-1]]:1: error: instruction not supported on this GPU
// GFX9: :[[@LINE-2]]:1: error: e64 variant of this instruction is not supported
// VI: :[[@LINE-3]]:1: error: instruction not supported on this GPU

v_swap_codegen_pseudo_b32 v1, v2
// GCN: :[[@LINE-1]]:1: error: invalid instruction
